;; amdgpu-corpus repo=ROCm/rocFFT kind=compiled arch=gfx1201 opt=O3
	.text
	.amdgcn_target "amdgcn-amd-amdhsa--gfx1201"
	.amdhsa_code_object_version 6
	.protected	fft_rtc_fwd_len448_factors_8_7_8_wgs_128_tpt_64_dp_ip_CI_sbrr_dirReg ; -- Begin function fft_rtc_fwd_len448_factors_8_7_8_wgs_128_tpt_64_dp_ip_CI_sbrr_dirReg
	.globl	fft_rtc_fwd_len448_factors_8_7_8_wgs_128_tpt_64_dp_ip_CI_sbrr_dirReg
	.p2align	8
	.type	fft_rtc_fwd_len448_factors_8_7_8_wgs_128_tpt_64_dp_ip_CI_sbrr_dirReg,@function
fft_rtc_fwd_len448_factors_8_7_8_wgs_128_tpt_64_dp_ip_CI_sbrr_dirReg: ; @fft_rtc_fwd_len448_factors_8_7_8_wgs_128_tpt_64_dp_ip_CI_sbrr_dirReg
; %bb.0:
	s_clause 0x2
	s_load_b64 s[12:13], s[0:1], 0x18
	s_load_b128 s[4:7], s[0:1], 0x0
	s_load_b64 s[10:11], s[0:1], 0x50
	v_lshrrev_b32_e32 v1, 6, v0
	v_mov_b32_e32 v3, 0
	s_delay_alu instid0(VALU_DEP_2) | instskip(SKIP_2) | instid1(VALU_DEP_4)
	v_lshl_or_b32 v5, ttmp9, 1, v1
	v_mov_b32_e32 v1, 0
	v_mov_b32_e32 v2, 0
	;; [unrolled: 1-line block ×3, first 2 shown]
	s_wait_kmcnt 0x0
	s_load_b64 s[8:9], s[12:13], 0x0
	v_cmp_lt_u64_e64 s2, s[6:7], 2
	s_delay_alu instid0(VALU_DEP_1)
	s_and_b32 vcc_lo, exec_lo, s2
	s_cbranch_vccnz .LBB0_8
; %bb.1:
	s_load_b64 s[2:3], s[0:1], 0x10
	v_mov_b32_e32 v1, 0
	v_mov_b32_e32 v2, 0
	s_add_nc_u64 s[14:15], s[12:13], 8
	s_mov_b64 s[16:17], 1
	s_wait_kmcnt 0x0
	s_add_nc_u64 s[18:19], s[2:3], 8
	s_mov_b32 s3, 0
.LBB0_2:                                ; =>This Inner Loop Header: Depth=1
	s_load_b64 s[20:21], s[18:19], 0x0
                                        ; implicit-def: $vgpr7_vgpr8
	s_mov_b32 s2, exec_lo
	s_wait_kmcnt 0x0
	v_or_b32_e32 v4, s21, v6
	s_delay_alu instid0(VALU_DEP_1)
	v_cmpx_ne_u64_e32 0, v[3:4]
	s_wait_alu 0xfffe
	s_xor_b32 s22, exec_lo, s2
	s_cbranch_execz .LBB0_4
; %bb.3:                                ;   in Loop: Header=BB0_2 Depth=1
	s_cvt_f32_u32 s2, s20
	s_cvt_f32_u32 s23, s21
	s_sub_nc_u64 s[26:27], 0, s[20:21]
	s_wait_alu 0xfffe
	s_delay_alu instid0(SALU_CYCLE_1) | instskip(SKIP_1) | instid1(SALU_CYCLE_2)
	s_fmamk_f32 s2, s23, 0x4f800000, s2
	s_wait_alu 0xfffe
	v_s_rcp_f32 s2, s2
	s_delay_alu instid0(TRANS32_DEP_1) | instskip(SKIP_1) | instid1(SALU_CYCLE_2)
	s_mul_f32 s2, s2, 0x5f7ffffc
	s_wait_alu 0xfffe
	s_mul_f32 s23, s2, 0x2f800000
	s_wait_alu 0xfffe
	s_delay_alu instid0(SALU_CYCLE_2) | instskip(SKIP_1) | instid1(SALU_CYCLE_2)
	s_trunc_f32 s23, s23
	s_wait_alu 0xfffe
	s_fmamk_f32 s2, s23, 0xcf800000, s2
	s_cvt_u32_f32 s25, s23
	s_wait_alu 0xfffe
	s_delay_alu instid0(SALU_CYCLE_1) | instskip(SKIP_1) | instid1(SALU_CYCLE_2)
	s_cvt_u32_f32 s24, s2
	s_wait_alu 0xfffe
	s_mul_u64 s[28:29], s[26:27], s[24:25]
	s_wait_alu 0xfffe
	s_mul_hi_u32 s31, s24, s29
	s_mul_i32 s30, s24, s29
	s_mul_hi_u32 s2, s24, s28
	s_mul_i32 s33, s25, s28
	s_wait_alu 0xfffe
	s_add_nc_u64 s[30:31], s[2:3], s[30:31]
	s_mul_hi_u32 s23, s25, s28
	s_mul_hi_u32 s34, s25, s29
	s_add_co_u32 s2, s30, s33
	s_wait_alu 0xfffe
	s_add_co_ci_u32 s2, s31, s23
	s_mul_i32 s28, s25, s29
	s_add_co_ci_u32 s29, s34, 0
	s_wait_alu 0xfffe
	s_add_nc_u64 s[28:29], s[2:3], s[28:29]
	s_wait_alu 0xfffe
	v_add_co_u32 v4, s2, s24, s28
	s_delay_alu instid0(VALU_DEP_1) | instskip(SKIP_1) | instid1(VALU_DEP_1)
	s_cmp_lg_u32 s2, 0
	s_add_co_ci_u32 s25, s25, s29
	v_readfirstlane_b32 s24, v4
	s_wait_alu 0xfffe
	s_delay_alu instid0(VALU_DEP_1)
	s_mul_u64 s[26:27], s[26:27], s[24:25]
	s_wait_alu 0xfffe
	s_mul_hi_u32 s29, s24, s27
	s_mul_i32 s28, s24, s27
	s_mul_hi_u32 s2, s24, s26
	s_mul_i32 s30, s25, s26
	s_wait_alu 0xfffe
	s_add_nc_u64 s[28:29], s[2:3], s[28:29]
	s_mul_hi_u32 s23, s25, s26
	s_mul_hi_u32 s24, s25, s27
	s_wait_alu 0xfffe
	s_add_co_u32 s2, s28, s30
	s_add_co_ci_u32 s2, s29, s23
	s_mul_i32 s26, s25, s27
	s_add_co_ci_u32 s27, s24, 0
	s_wait_alu 0xfffe
	s_add_nc_u64 s[26:27], s[2:3], s[26:27]
	s_wait_alu 0xfffe
	v_add_co_u32 v4, s2, v4, s26
	s_delay_alu instid0(VALU_DEP_1) | instskip(SKIP_1) | instid1(VALU_DEP_1)
	s_cmp_lg_u32 s2, 0
	s_add_co_ci_u32 s2, s25, s27
	v_mul_hi_u32 v13, v5, v4
	s_wait_alu 0xfffe
	v_mad_co_u64_u32 v[7:8], null, v5, s2, 0
	v_mad_co_u64_u32 v[9:10], null, v6, v4, 0
	;; [unrolled: 1-line block ×3, first 2 shown]
	s_delay_alu instid0(VALU_DEP_3) | instskip(SKIP_1) | instid1(VALU_DEP_4)
	v_add_co_u32 v4, vcc_lo, v13, v7
	s_wait_alu 0xfffd
	v_add_co_ci_u32_e32 v7, vcc_lo, 0, v8, vcc_lo
	s_delay_alu instid0(VALU_DEP_2) | instskip(SKIP_1) | instid1(VALU_DEP_2)
	v_add_co_u32 v4, vcc_lo, v4, v9
	s_wait_alu 0xfffd
	v_add_co_ci_u32_e32 v4, vcc_lo, v7, v10, vcc_lo
	s_wait_alu 0xfffd
	v_add_co_ci_u32_e32 v7, vcc_lo, 0, v12, vcc_lo
	s_delay_alu instid0(VALU_DEP_2) | instskip(SKIP_1) | instid1(VALU_DEP_2)
	v_add_co_u32 v4, vcc_lo, v4, v11
	s_wait_alu 0xfffd
	v_add_co_ci_u32_e32 v9, vcc_lo, 0, v7, vcc_lo
	s_delay_alu instid0(VALU_DEP_2) | instskip(SKIP_1) | instid1(VALU_DEP_3)
	v_mul_lo_u32 v10, s21, v4
	v_mad_co_u64_u32 v[7:8], null, s20, v4, 0
	v_mul_lo_u32 v11, s20, v9
	s_delay_alu instid0(VALU_DEP_2) | instskip(NEXT) | instid1(VALU_DEP_2)
	v_sub_co_u32 v7, vcc_lo, v5, v7
	v_add3_u32 v8, v8, v11, v10
	s_delay_alu instid0(VALU_DEP_1) | instskip(SKIP_1) | instid1(VALU_DEP_1)
	v_sub_nc_u32_e32 v10, v6, v8
	s_wait_alu 0xfffd
	v_subrev_co_ci_u32_e64 v10, s2, s21, v10, vcc_lo
	v_add_co_u32 v11, s2, v4, 2
	s_wait_alu 0xf1ff
	v_add_co_ci_u32_e64 v12, s2, 0, v9, s2
	v_sub_co_u32 v13, s2, v7, s20
	v_sub_co_ci_u32_e32 v8, vcc_lo, v6, v8, vcc_lo
	s_wait_alu 0xf1ff
	v_subrev_co_ci_u32_e64 v10, s2, 0, v10, s2
	s_delay_alu instid0(VALU_DEP_3) | instskip(NEXT) | instid1(VALU_DEP_3)
	v_cmp_le_u32_e32 vcc_lo, s20, v13
	v_cmp_eq_u32_e64 s2, s21, v8
	s_wait_alu 0xfffd
	v_cndmask_b32_e64 v13, 0, -1, vcc_lo
	v_cmp_le_u32_e32 vcc_lo, s21, v10
	s_wait_alu 0xfffd
	v_cndmask_b32_e64 v14, 0, -1, vcc_lo
	v_cmp_le_u32_e32 vcc_lo, s20, v7
	;; [unrolled: 3-line block ×3, first 2 shown]
	s_wait_alu 0xfffd
	v_cndmask_b32_e64 v15, 0, -1, vcc_lo
	v_cmp_eq_u32_e32 vcc_lo, s21, v10
	s_wait_alu 0xf1ff
	s_delay_alu instid0(VALU_DEP_2)
	v_cndmask_b32_e64 v7, v15, v7, s2
	s_wait_alu 0xfffd
	v_cndmask_b32_e32 v10, v14, v13, vcc_lo
	v_add_co_u32 v13, vcc_lo, v4, 1
	s_wait_alu 0xfffd
	v_add_co_ci_u32_e32 v14, vcc_lo, 0, v9, vcc_lo
	s_delay_alu instid0(VALU_DEP_3) | instskip(SKIP_2) | instid1(VALU_DEP_3)
	v_cmp_ne_u32_e32 vcc_lo, 0, v10
	s_wait_alu 0xfffd
	v_cndmask_b32_e32 v10, v13, v11, vcc_lo
	v_cndmask_b32_e32 v8, v14, v12, vcc_lo
	v_cmp_ne_u32_e32 vcc_lo, 0, v7
	s_wait_alu 0xfffd
	s_delay_alu instid0(VALU_DEP_2)
	v_dual_cndmask_b32 v7, v4, v10 :: v_dual_cndmask_b32 v8, v9, v8
.LBB0_4:                                ;   in Loop: Header=BB0_2 Depth=1
	s_wait_alu 0xfffe
	s_and_not1_saveexec_b32 s2, s22
	s_cbranch_execz .LBB0_6
; %bb.5:                                ;   in Loop: Header=BB0_2 Depth=1
	v_cvt_f32_u32_e32 v4, s20
	s_sub_co_i32 s22, 0, s20
	s_delay_alu instid0(VALU_DEP_1) | instskip(NEXT) | instid1(TRANS32_DEP_1)
	v_rcp_iflag_f32_e32 v4, v4
	v_mul_f32_e32 v4, 0x4f7ffffe, v4
	s_delay_alu instid0(VALU_DEP_1) | instskip(SKIP_1) | instid1(VALU_DEP_1)
	v_cvt_u32_f32_e32 v4, v4
	s_wait_alu 0xfffe
	v_mul_lo_u32 v7, s22, v4
	s_delay_alu instid0(VALU_DEP_1) | instskip(NEXT) | instid1(VALU_DEP_1)
	v_mul_hi_u32 v7, v4, v7
	v_add_nc_u32_e32 v4, v4, v7
	s_delay_alu instid0(VALU_DEP_1) | instskip(NEXT) | instid1(VALU_DEP_1)
	v_mul_hi_u32 v4, v5, v4
	v_mul_lo_u32 v7, v4, s20
	v_add_nc_u32_e32 v8, 1, v4
	s_delay_alu instid0(VALU_DEP_2) | instskip(NEXT) | instid1(VALU_DEP_1)
	v_sub_nc_u32_e32 v7, v5, v7
	v_subrev_nc_u32_e32 v9, s20, v7
	v_cmp_le_u32_e32 vcc_lo, s20, v7
	s_wait_alu 0xfffd
	s_delay_alu instid0(VALU_DEP_2) | instskip(NEXT) | instid1(VALU_DEP_1)
	v_dual_cndmask_b32 v7, v7, v9 :: v_dual_cndmask_b32 v4, v4, v8
	v_cmp_le_u32_e32 vcc_lo, s20, v7
	s_delay_alu instid0(VALU_DEP_2) | instskip(SKIP_1) | instid1(VALU_DEP_1)
	v_add_nc_u32_e32 v8, 1, v4
	s_wait_alu 0xfffd
	v_dual_cndmask_b32 v7, v4, v8 :: v_dual_mov_b32 v8, v3
.LBB0_6:                                ;   in Loop: Header=BB0_2 Depth=1
	s_wait_alu 0xfffe
	s_or_b32 exec_lo, exec_lo, s2
	s_load_b64 s[22:23], s[14:15], 0x0
	s_delay_alu instid0(VALU_DEP_1)
	v_mul_lo_u32 v4, v8, s20
	v_mul_lo_u32 v11, v7, s21
	v_mad_co_u64_u32 v[9:10], null, v7, s20, 0
	s_add_nc_u64 s[16:17], s[16:17], 1
	s_add_nc_u64 s[14:15], s[14:15], 8
	s_wait_alu 0xfffe
	v_cmp_ge_u64_e64 s2, s[16:17], s[6:7]
	s_add_nc_u64 s[18:19], s[18:19], 8
	s_delay_alu instid0(VALU_DEP_2) | instskip(NEXT) | instid1(VALU_DEP_3)
	v_add3_u32 v4, v10, v11, v4
	v_sub_co_u32 v5, vcc_lo, v5, v9
	s_wait_alu 0xfffd
	s_delay_alu instid0(VALU_DEP_2) | instskip(SKIP_3) | instid1(VALU_DEP_2)
	v_sub_co_ci_u32_e32 v4, vcc_lo, v6, v4, vcc_lo
	s_and_b32 vcc_lo, exec_lo, s2
	s_wait_kmcnt 0x0
	v_mul_lo_u32 v6, s23, v5
	v_mul_lo_u32 v4, s22, v4
	v_mad_co_u64_u32 v[1:2], null, s22, v5, v[1:2]
	s_delay_alu instid0(VALU_DEP_1)
	v_add3_u32 v2, v6, v2, v4
	s_wait_alu 0xfffe
	s_cbranch_vccnz .LBB0_9
; %bb.7:                                ;   in Loop: Header=BB0_2 Depth=1
	v_dual_mov_b32 v5, v7 :: v_dual_mov_b32 v6, v8
	s_branch .LBB0_2
.LBB0_8:
	v_dual_mov_b32 v8, v6 :: v_dual_mov_b32 v7, v5
.LBB0_9:
	s_lshl_b64 s[2:3], s[6:7], 3
	v_and_b32_e32 v5, 64, v0
	s_wait_alu 0xfffe
	s_add_nc_u64 s[2:3], s[12:13], s[2:3]
	v_and_b32_e32 v53, 63, v0
	s_load_b64 s[2:3], s[2:3], 0x0
	s_load_b64 s[0:1], s[0:1], 0x20
	v_cmp_ne_u32_e32 vcc_lo, 0, v5
	s_delay_alu instid0(VALU_DEP_2)
	v_or_b32_e32 v52, 64, v53
	v_or_b32_e32 v51, 0x80, v53
	;; [unrolled: 1-line block ×6, first 2 shown]
	s_wait_kmcnt 0x0
	v_mul_lo_u32 v6, s2, v8
	v_mul_lo_u32 v9, s3, v7
	v_mad_co_u64_u32 v[3:4], null, s2, v7, v[1:2]
	s_wait_alu 0xfffd
	v_cndmask_b32_e64 v2, 0, 0x1c0, vcc_lo
	v_cmp_gt_u64_e32 vcc_lo, s[0:1], v[7:8]
	v_lshlrev_b32_e32 v1, 4, v53
	s_delay_alu instid0(VALU_DEP_3) | instskip(SKIP_1) | instid1(VALU_DEP_1)
	v_lshlrev_b32_e32 v56, 4, v2
	v_add3_u32 v4, v9, v4, v6
	v_lshlrev_b64_e32 v[33:34], 4, v[3:4]
	s_and_saveexec_b32 s1, vcc_lo
	s_cbranch_execz .LBB0_11
; %bb.10:
	v_mad_co_u64_u32 v[3:4], null, s8, v53, 0
	v_mad_co_u64_u32 v[5:6], null, s8, v52, 0
	;; [unrolled: 1-line block ×4, first 2 shown]
	v_add_co_u32 v27, s0, s10, v33
	s_delay_alu instid0(VALU_DEP_4) | instskip(SKIP_4) | instid1(VALU_DEP_4)
	v_mad_co_u64_u32 v[7:8], null, s9, v53, v[4:5]
	s_wait_alu 0xf1ff
	v_add_co_ci_u32_e64 v28, s0, s11, v34, s0
	v_mad_co_u64_u32 v[15:16], null, s8, v49, 0
	v_mad_co_u64_u32 v[17:18], null, s8, v48, 0
	;; [unrolled: 1-line block ×3, first 2 shown]
	v_dual_mov_b32 v4, v7 :: v_dual_mov_b32 v7, v12
	v_or_b32_e32 v2, v2, v53
	v_add3_u32 v31, 0, v56, v1
	s_delay_alu instid0(VALU_DEP_3) | instskip(SKIP_3) | instid1(VALU_DEP_3)
	v_lshlrev_b64_e32 v[3:4], 4, v[3:4]
	v_mov_b32_e32 v6, v8
	v_mad_co_u64_u32 v[7:8], null, s9, v51, v[7:8]
	v_lshl_add_u32 v2, v2, 4, 0
	v_lshlrev_b64_e32 v[5:6], 4, v[5:6]
	v_add_co_u32 v3, s0, v27, v3
	s_wait_alu 0xf1ff
	v_add_co_ci_u32_e64 v4, s0, v28, v4, s0
	s_delay_alu instid0(VALU_DEP_3) | instskip(SKIP_4) | instid1(VALU_DEP_1)
	v_add_co_u32 v8, s0, v27, v5
	v_mov_b32_e32 v5, v14
	s_wait_alu 0xf1ff
	v_add_co_ci_u32_e64 v9, s0, v28, v6, s0
	v_mov_b32_e32 v6, v16
	v_mad_co_u64_u32 v[19:20], null, s9, v50, v[5:6]
	v_mad_co_u64_u32 v[20:21], null, s9, v49, v[6:7]
	;; [unrolled: 1-line block ×3, first 2 shown]
	v_mov_b32_e32 v12, v7
	s_clause 0x1
	global_load_b128 v[3:6], v[3:4], off
	global_load_b128 v[7:10], v[8:9], off
	v_mov_b32_e32 v14, v19
	v_mad_co_u64_u32 v[18:19], null, s9, v48, v[18:19]
	v_dual_mov_b32 v16, v20 :: v_dual_mov_b32 v19, v22
	v_lshlrev_b64_e32 v[11:12], 4, v[11:12]
	s_delay_alu instid0(VALU_DEP_4) | instskip(NEXT) | instid1(VALU_DEP_3)
	v_lshlrev_b64_e32 v[13:14], 4, v[13:14]
	v_lshlrev_b64_e32 v[15:16], 4, v[15:16]
	s_delay_alu instid0(VALU_DEP_4) | instskip(NEXT) | instid1(VALU_DEP_4)
	v_mad_co_u64_u32 v[19:20], null, s9, v47, v[19:20]
	v_add_co_u32 v11, s0, v27, v11
	s_wait_alu 0xf1ff
	v_add_co_ci_u32_e64 v12, s0, v28, v12, s0
	v_add_co_u32 v23, s0, v27, v13
	s_delay_alu instid0(VALU_DEP_4)
	v_mov_b32_e32 v22, v19
	s_wait_alu 0xf1ff
	v_add_co_ci_u32_e64 v24, s0, v28, v14, s0
	v_lshlrev_b64_e32 v[13:14], 4, v[17:18]
	v_add_co_u32 v19, s0, v27, v15
	s_wait_alu 0xf1ff
	v_add_co_ci_u32_e64 v20, s0, v28, v16, s0
	v_lshlrev_b64_e32 v[15:16], 4, v[21:22]
	s_delay_alu instid0(VALU_DEP_4) | instskip(SKIP_2) | instid1(VALU_DEP_3)
	v_add_co_u32 v25, s0, v27, v13
	s_wait_alu 0xf1ff
	v_add_co_ci_u32_e64 v26, s0, v28, v14, s0
	v_add_co_u32 v27, s0, v27, v15
	s_wait_alu 0xf1ff
	v_add_co_ci_u32_e64 v28, s0, v28, v16, s0
	s_clause 0x4
	global_load_b128 v[11:14], v[11:12], off
	global_load_b128 v[15:18], v[23:24], off
	;; [unrolled: 1-line block ×5, first 2 shown]
	s_wait_loadcnt 0x6
	ds_store_b128 v2, v[3:6]
	s_wait_loadcnt 0x5
	ds_store_b128 v31, v[7:10] offset:1024
	s_wait_loadcnt 0x4
	ds_store_b128 v31, v[11:14] offset:2048
	s_wait_loadcnt 0x3
	ds_store_b128 v31, v[15:18] offset:3072
	s_wait_loadcnt 0x2
	ds_store_b128 v31, v[19:22] offset:4096
	s_wait_loadcnt 0x1
	ds_store_b128 v31, v[23:26] offset:5120
	s_wait_loadcnt 0x0
	ds_store_b128 v31, v[27:30] offset:6144
.LBB0_11:
	s_wait_alu 0xfffe
	s_or_b32 exec_lo, exec_lo, s1
	v_add_nc_u32_e32 v57, 0, v1
	v_add3_u32 v54, 0, v56, v1
	global_wb scope:SCOPE_SE
	s_wait_dscnt 0x0
	s_barrier_signal -1
	s_barrier_wait -1
	v_add_nc_u32_e32 v55, v57, v56
	global_inv scope:SCOPE_SE
	s_mov_b32 s2, 0x667f3bcd
	s_mov_b32 s3, 0x3fe6a09e
	s_mov_b32 s7, 0xbfe6a09e
	ds_load_b128 v[1:4], v55 offset:3584
	ds_load_b128 v[9:12], v54
	ds_load_b128 v[5:8], v55 offset:1792
	ds_load_b128 v[21:24], v55 offset:5376
	;; [unrolled: 1-line block ×6, first 2 shown]
	s_wait_alu 0xfffe
	s_mov_b32 s6, s2
	v_cmp_gt_u32_e64 s0, 56, v53
	global_wb scope:SCOPE_SE
	s_wait_dscnt 0x0
	s_barrier_signal -1
	s_barrier_wait -1
	global_inv scope:SCOPE_SE
	v_add_f64_e64 v[25:26], v[9:10], -v[1:2]
	v_add_f64_e64 v[27:28], v[11:12], -v[3:4]
	;; [unrolled: 1-line block ×8, first 2 shown]
	v_add_f64_e32 v[23:24], v[27:28], v[37:38]
	v_add_f64_e64 v[21:22], v[25:26], -v[45:46]
	s_delay_alu instid0(VALU_DEP_4) | instskip(NEXT) | instid1(VALU_DEP_4)
	v_add_f64_e64 v[35:36], v[29:30], -v[43:44]
	v_add_f64_e32 v[39:40], v[31:32], v[41:42]
	s_delay_alu instid0(VALU_DEP_2) | instskip(NEXT) | instid1(VALU_DEP_2)
	v_fma_f64 v[1:2], v[35:36], s[2:3], v[21:22]
	v_fma_f64 v[3:4], v[39:40], s[2:3], v[23:24]
	s_wait_alu 0xfffe
	s_delay_alu instid0(VALU_DEP_2) | instskip(NEXT) | instid1(VALU_DEP_2)
	v_fma_f64 v[1:2], v[39:40], s[6:7], v[1:2]
	v_fma_f64 v[3:4], v[35:36], s[2:3], v[3:4]
	s_and_saveexec_b32 s1, s0
	s_cbranch_execz .LBB0_13
; %bb.12:
	v_fma_f64 v[11:12], v[11:12], 2.0, -v[27:28]
	v_fma_f64 v[7:8], v[7:8], 2.0, -v[45:46]
	;; [unrolled: 1-line block ×12, first 2 shown]
	v_add_f64_e64 v[35:36], v[11:12], -v[7:8]
	v_add_f64_e64 v[15:16], v[19:20], -v[15:16]
	;; [unrolled: 1-line block ×4, first 2 shown]
	v_fma_f64 v[13:14], v[31:32], s[6:7], v[27:28]
	v_fma_f64 v[41:42], v[11:12], 2.0, -v[35:36]
	v_fma_f64 v[19:20], v[19:20], 2.0, -v[15:16]
	;; [unrolled: 1-line block ×4, first 2 shown]
	v_fma_f64 v[17:18], v[29:30], s[6:7], v[39:40]
	v_add_f64_e32 v[7:8], v[35:36], v[5:6]
	v_add_f64_e64 v[5:6], v[37:38], -v[15:16]
	v_fma_f64 v[11:12], v[29:30], s[2:3], v[13:14]
	v_add_f64_e64 v[15:16], v[41:42], -v[19:20]
	v_fma_f64 v[19:20], v[23:24], 2.0, -v[3:4]
	v_add_f64_e64 v[13:14], v[43:44], -v[9:10]
	v_fma_f64 v[9:10], v[31:32], s[6:7], v[17:18]
	v_fma_f64 v[25:26], v[35:36], 2.0, -v[7:8]
	v_fma_f64 v[23:24], v[37:38], 2.0, -v[5:6]
	;; [unrolled: 1-line block ×4, first 2 shown]
	v_mul_u32_u24_e32 v21, 0x70, v53
	s_delay_alu instid0(VALU_DEP_1)
	v_add3_u32 v21, v57, v21, v56
	v_fma_f64 v[37:38], v[41:42], 2.0, -v[15:16]
	v_fma_f64 v[35:36], v[43:44], 2.0, -v[13:14]
	;; [unrolled: 1-line block ×3, first 2 shown]
	ds_store_b128 v21, v[23:26] offset:32
	ds_store_b128 v21, v[17:20] offset:48
	;; [unrolled: 1-line block ×4, first 2 shown]
	ds_store_b128 v21, v[35:38]
	ds_store_b128 v21, v[27:30] offset:16
	ds_store_b128 v21, v[5:8] offset:96
	;; [unrolled: 1-line block ×3, first 2 shown]
.LBB0_13:
	s_wait_alu 0xfffe
	s_or_b32 exec_lo, exec_lo, s1
	v_and_b32_e32 v0, 7, v0
	global_wb scope:SCOPE_SE
	s_wait_dscnt 0x0
	s_barrier_signal -1
	s_barrier_wait -1
	global_inv scope:SCOPE_SE
	v_mul_u32_u24_e32 v5, 6, v0
	s_mov_b32 s2, 0x37e14327
	s_mov_b32 s3, 0x3fe948f6
	;; [unrolled: 1-line block ×4, first 2 shown]
	v_lshlrev_b32_e32 v25, 4, v5
	s_mov_b32 s7, 0x3fac98ee
	s_mov_b32 s13, 0xbfe11646
	;; [unrolled: 1-line block ×4, first 2 shown]
	s_clause 0x5
	global_load_b128 v[5:8], v25, s[4:5]
	global_load_b128 v[9:12], v25, s[4:5] offset:16
	global_load_b128 v[13:16], v25, s[4:5] offset:80
	;; [unrolled: 1-line block ×5, first 2 shown]
	ds_load_b128 v[29:32], v55 offset:1024
	ds_load_b128 v[35:38], v55 offset:2048
	;; [unrolled: 1-line block ×6, first 2 shown]
	s_mov_b32 s17, 0x3fd5d0dc
	s_mov_b32 s16, 0xb247c609
	s_wait_loadcnt_dscnt 0x505
	v_mul_f64_e32 v[65:66], v[31:32], v[7:8]
	v_mul_f64_e32 v[7:8], v[29:30], v[7:8]
	s_wait_loadcnt_dscnt 0x404
	v_mul_f64_e32 v[67:68], v[37:38], v[11:12]
	v_mul_f64_e32 v[11:12], v[35:36], v[11:12]
	;; [unrolled: 3-line block ×6, first 2 shown]
	v_fma_f64 v[29:30], v[29:30], v[5:6], -v[65:66]
	v_fma_f64 v[5:6], v[31:32], v[5:6], v[7:8]
	v_fma_f64 v[7:8], v[35:36], v[9:10], -v[67:68]
	v_fma_f64 v[9:10], v[37:38], v[9:10], v[11:12]
	;; [unrolled: 2-line block ×6, first 2 shown]
	v_add_f64_e32 v[27:28], v[29:30], v[11:12]
	v_add_f64_e32 v[31:32], v[5:6], v[13:14]
	;; [unrolled: 1-line block ×4, first 2 shown]
	v_add_f64_e64 v[15:16], v[7:8], -v[15:16]
	v_add_f64_e64 v[9:10], v[9:10], -v[17:18]
	v_add_f64_e32 v[39:40], v[19:20], v[23:24]
	v_add_f64_e32 v[41:42], v[21:22], v[25:26]
	v_add_f64_e64 v[17:18], v[23:24], -v[19:20]
	v_add_f64_e64 v[19:20], v[25:26], -v[21:22]
	v_add_f64_e64 v[11:12], v[29:30], -v[11:12]
	v_add_f64_e64 v[13:14], v[5:6], -v[13:14]
	v_add_f64_e32 v[5:6], v[35:36], v[27:28]
	v_add_f64_e32 v[7:8], v[37:38], v[31:32]
	v_add_f64_e64 v[21:22], v[27:28], -v[39:40]
	v_add_f64_e64 v[23:24], v[31:32], -v[41:42]
	;; [unrolled: 1-line block ×10, first 2 shown]
	v_add_f64_e32 v[15:16], v[17:18], v[15:16]
	v_add_f64_e32 v[9:10], v[19:20], v[9:10]
	v_add_f64_e64 v[17:18], v[11:12], -v[17:18]
	v_add_f64_e64 v[19:20], v[13:14], -v[19:20]
	v_add_f64_e32 v[39:40], v[39:40], v[5:6]
	v_add_f64_e32 v[41:42], v[41:42], v[7:8]
	ds_load_b128 v[5:8], v54
	global_wb scope:SCOPE_SE
	s_wait_dscnt 0x0
	s_wait_alu 0xfffe
	v_mul_f64_e32 v[21:22], s[2:3], v[21:22]
	v_mul_f64_e32 v[23:24], s[2:3], v[23:24]
	s_mov_b32 s2, 0x429ad128
	v_mul_f64_e32 v[35:36], s[6:7], v[25:26]
	v_mul_f64_e32 v[37:38], s[6:7], v[29:30]
	;; [unrolled: 1-line block ×4, first 2 shown]
	s_mov_b32 s3, 0x3febfeb5
	s_mov_b32 s12, 0xaaaaaaaa
	s_wait_alu 0xfffe
	v_mul_f64_e32 v[61:62], s[2:3], v[57:58]
	v_mul_f64_e32 v[63:64], s[2:3], v[59:60]
	s_mov_b32 s13, 0xbff2aaaa
	v_add_f64_e32 v[11:12], v[15:16], v[11:12]
	v_add_f64_e32 v[9:10], v[9:10], v[13:14]
	s_barrier_signal -1
	s_barrier_wait -1
	global_inv scope:SCOPE_SE
	v_add_f64_e32 v[5:6], v[5:6], v[39:40]
	v_add_f64_e32 v[7:8], v[7:8], v[41:42]
	v_fma_f64 v[13:14], v[25:26], s[6:7], v[21:22]
	v_fma_f64 v[15:16], v[29:30], s[6:7], v[23:24]
	v_fma_f64 v[25:26], v[27:28], s[14:15], -v[35:36]
	v_fma_f64 v[29:30], v[31:32], s[14:15], -v[37:38]
	s_mov_b32 s15, 0xbfe77f67
	v_fma_f64 v[35:36], v[17:18], s[16:17], v[43:44]
	v_fma_f64 v[37:38], v[19:20], s[16:17], v[45:46]
	s_mov_b32 s17, 0xbfd5d0dc
	v_fma_f64 v[43:44], v[57:58], s[2:3], -v[43:44]
	v_fma_f64 v[45:46], v[59:60], s[2:3], -v[45:46]
	s_wait_alu 0xfffe
	v_fma_f64 v[17:18], v[17:18], s[16:17], -v[61:62]
	v_fma_f64 v[19:20], v[19:20], s[16:17], -v[63:64]
	;; [unrolled: 1-line block ×4, first 2 shown]
	s_mov_b32 s2, 0x37c3f68c
	s_mov_b32 s3, 0x3fdc38aa
	v_fma_f64 v[39:40], v[39:40], s[12:13], v[5:6]
	v_fma_f64 v[41:42], v[41:42], s[12:13], v[7:8]
	s_wait_alu 0xfffe
	v_fma_f64 v[31:32], v[11:12], s[2:3], v[35:36]
	v_fma_f64 v[35:36], v[9:10], s[2:3], v[37:38]
	;; [unrolled: 1-line block ×6, first 2 shown]
	v_add_f64_e32 v[57:58], v[13:14], v[39:40]
	v_add_f64_e32 v[59:60], v[15:16], v[41:42]
	;; [unrolled: 1-line block ×7, first 2 shown]
	v_add_f64_e64 v[11:12], v[59:60], -v[31:32]
	v_add_f64_e32 v[13:14], v[45:46], v[61:62]
	v_add_f64_e64 v[15:16], v[63:64], -v[43:44]
	v_add_f64_e64 v[17:18], v[21:22], -v[37:38]
	v_add_f64_e32 v[19:20], v[27:28], v[23:24]
	v_add_f64_e32 v[21:22], v[37:38], v[21:22]
	v_add_f64_e64 v[23:24], v[23:24], -v[27:28]
	v_add_f64_e64 v[25:26], v[61:62], -v[45:46]
	v_add_f64_e32 v[27:28], v[43:44], v[63:64]
	v_add_f64_e64 v[29:30], v[57:58], -v[35:36]
	v_add_f64_e32 v[31:32], v[31:32], v[59:60]
	v_lshrrev_b32_e32 v35, 3, v53
	s_delay_alu instid0(VALU_DEP_1) | instskip(NEXT) | instid1(VALU_DEP_1)
	v_mul_u32_u24_e32 v35, 56, v35
	v_or_b32_e32 v0, v35, v0
	s_delay_alu instid0(VALU_DEP_1) | instskip(NEXT) | instid1(VALU_DEP_1)
	v_lshlrev_b32_e32 v0, 4, v0
	v_add3_u32 v0, 0, v0, v56
	ds_store_b128 v0, v[5:8]
	ds_store_b128 v0, v[9:12] offset:128
	ds_store_b128 v0, v[13:16] offset:256
	;; [unrolled: 1-line block ×6, first 2 shown]
	global_wb scope:SCOPE_SE
	s_wait_dscnt 0x0
	s_barrier_signal -1
	s_barrier_wait -1
	global_inv scope:SCOPE_SE
	s_and_saveexec_b32 s1, s0
	s_cbranch_execz .LBB0_15
; %bb.14:
	ds_load_b128 v[5:8], v54
	ds_load_b128 v[9:12], v55 offset:896
	ds_load_b128 v[13:16], v55 offset:1792
	;; [unrolled: 1-line block ×7, first 2 shown]
.LBB0_15:
	s_wait_alu 0xfffe
	s_or_b32 exec_lo, exec_lo, s1
	global_wb scope:SCOPE_SE
	s_wait_dscnt 0x0
	s_barrier_signal -1
	s_barrier_wait -1
	global_inv scope:SCOPE_SE
	s_and_saveexec_b32 s1, s0
	s_cbranch_execz .LBB0_17
; %bb.16:
	v_subrev_nc_u32_e32 v0, 56, v53
	v_mov_b32_e32 v36, 0
	s_mov_b32 s2, 0x667f3bcd
	s_mov_b32 s3, 0x3fe6a09e
	s_delay_alu instid0(VALU_DEP_2) | instskip(NEXT) | instid1(VALU_DEP_1)
	v_cndmask_b32_e64 v0, v0, v53, s0
	v_mul_i32_i24_e32 v35, 7, v0
	s_delay_alu instid0(VALU_DEP_1) | instskip(NEXT) | instid1(VALU_DEP_1)
	v_lshlrev_b64_e32 v[35:36], 4, v[35:36]
	v_add_co_u32 v68, s0, s4, v35
	s_wait_alu 0xf1ff
	s_delay_alu instid0(VALU_DEP_2)
	v_add_co_ci_u32_e64 v69, s0, s5, v36, s0
	s_mov_b32 s5, 0xbfe6a09e
	s_wait_alu 0xfffe
	s_mov_b32 s4, s2
	s_clause 0x6
	global_load_b128 v[35:38], v[68:69], off offset:784
	global_load_b128 v[39:42], v[68:69], off offset:848
	;; [unrolled: 1-line block ×7, first 2 shown]
	s_wait_loadcnt 0x6
	v_mul_f64_e32 v[72:73], v[15:16], v[37:38]
	s_wait_loadcnt 0x5
	v_mul_f64_e32 v[74:75], v[31:32], v[41:42]
	;; [unrolled: 2-line block ×4, first 2 shown]
	v_mul_f64_e32 v[58:59], v[9:10], v[58:59]
	s_wait_loadcnt 0x2
	v_mul_f64_e32 v[80:81], v[25:26], v[62:63]
	s_wait_loadcnt 0x1
	;; [unrolled: 2-line block ×3, first 2 shown]
	v_mul_f64_e32 v[84:85], v[3:4], v[70:71]
	v_mul_f64_e32 v[37:38], v[13:14], v[37:38]
	;; [unrolled: 1-line block ×7, first 2 shown]
	v_fma_f64 v[13:14], v[13:14], v[35:36], -v[72:73]
	v_fma_f64 v[29:30], v[29:30], v[39:40], -v[74:75]
	v_fma_f64 v[23:24], v[23:24], v[43:44], v[76:77]
	v_fma_f64 v[9:10], v[9:10], v[56:57], -v[78:79]
	v_fma_f64 v[11:12], v[11:12], v[56:57], v[58:59]
	v_fma_f64 v[27:28], v[27:28], v[60:61], v[80:81]
	v_fma_f64 v[17:18], v[17:18], v[64:65], -v[82:83]
	v_fma_f64 v[0:1], v[1:2], v[68:69], -v[84:85]
	v_fma_f64 v[15:16], v[15:16], v[35:36], v[37:38]
	v_fma_f64 v[31:32], v[31:32], v[39:40], v[41:42]
	v_fma_f64 v[25:26], v[25:26], v[60:61], -v[62:63]
	v_fma_f64 v[21:22], v[21:22], v[43:44], -v[45:46]
	v_fma_f64 v[19:20], v[19:20], v[64:65], v[66:67]
	v_fma_f64 v[2:3], v[3:4], v[68:69], v[70:71]
	v_add_f64_e64 v[29:30], v[13:14], -v[29:30]
	v_add_f64_e64 v[23:24], v[7:8], -v[23:24]
	;; [unrolled: 1-line block ×8, first 2 shown]
	v_fma_f64 v[13:14], v[13:14], 2.0, -v[29:30]
	v_add_f64_e32 v[35:36], v[23:24], v[29:30]
	v_fma_f64 v[7:8], v[7:8], 2.0, -v[23:24]
	v_fma_f64 v[11:12], v[11:12], 2.0, -v[27:28]
	v_add_f64_e32 v[37:38], v[27:28], v[0:1]
	v_fma_f64 v[0:1], v[17:18], 2.0, -v[0:1]
	v_fma_f64 v[15:16], v[15:16], 2.0, -v[31:32]
	;; [unrolled: 1-line block ×4, first 2 shown]
	v_add_f64_e64 v[29:30], v[21:22], -v[31:32]
	v_fma_f64 v[17:18], v[19:20], 2.0, -v[2:3]
	v_add_f64_e64 v[2:3], v[25:26], -v[2:3]
	v_fma_f64 v[39:40], v[23:24], 2.0, -v[35:36]
	v_fma_f64 v[19:20], v[27:28], 2.0, -v[37:38]
	v_add_f64_e64 v[31:32], v[7:8], -v[15:16]
	v_add_f64_e64 v[0:1], v[9:10], -v[0:1]
	;; [unrolled: 1-line block ×4, first 2 shown]
	v_fma_f64 v[13:14], v[25:26], 2.0, -v[2:3]
	v_fma_f64 v[24:25], v[21:22], 2.0, -v[29:30]
	v_fma_f64 v[17:18], v[37:38], s[2:3], v[35:36]
	v_fma_f64 v[21:22], v[2:3], s[2:3], v[29:30]
	s_wait_alu 0xfffe
	v_fma_f64 v[41:42], v[19:20], s[4:5], v[39:40]
	v_fma_f64 v[43:44], v[7:8], 2.0, -v[31:32]
	v_fma_f64 v[8:9], v[9:10], 2.0, -v[0:1]
	;; [unrolled: 1-line block ×3, first 2 shown]
	v_add_f64_e32 v[6:7], v[31:32], v[0:1]
	v_fma_f64 v[45:46], v[11:12], 2.0, -v[15:16]
	v_add_f64_e64 v[4:5], v[27:28], -v[15:16]
	v_fma_f64 v[58:59], v[13:14], s[4:5], v[24:25]
	v_fma_f64 v[2:3], v[2:3], s[2:3], v[17:18]
	;; [unrolled: 1-line block ×4, first 2 shown]
	v_add_f64_e64 v[12:13], v[56:57], -v[8:9]
	v_fma_f64 v[22:23], v[31:32], 2.0, -v[6:7]
	v_add_f64_e64 v[14:15], v[43:44], -v[45:46]
	v_fma_f64 v[8:9], v[19:20], s[4:5], v[58:59]
	v_fma_f64 v[20:21], v[27:28], 2.0, -v[4:5]
	v_fma_f64 v[18:19], v[35:36], 2.0, -v[2:3]
	;; [unrolled: 1-line block ×7, first 2 shown]
	ds_store_b128 v55, v[20:23] offset:1792
	ds_store_b128 v55, v[16:19] offset:2688
	;; [unrolled: 1-line block ×4, first 2 shown]
	ds_store_b128 v54, v[28:31]
	ds_store_b128 v55, v[24:27] offset:896
	ds_store_b128 v55, v[4:7] offset:5376
	;; [unrolled: 1-line block ×3, first 2 shown]
.LBB0_17:
	s_wait_alu 0xfffe
	s_or_b32 exec_lo, exec_lo, s1
	global_wb scope:SCOPE_SE
	s_wait_dscnt 0x0
	s_barrier_signal -1
	s_barrier_wait -1
	global_inv scope:SCOPE_SE
	s_and_saveexec_b32 s0, vcc_lo
	s_cbranch_execz .LBB0_19
; %bb.18:
	v_mad_co_u64_u32 v[8:9], null, s8, v53, 0
	v_mad_co_u64_u32 v[10:11], null, s8, v52, 0
	v_mad_co_u64_u32 v[12:13], null, s8, v51, 0
	v_add_co_u32 v30, vcc_lo, s10, v33
	s_delay_alu instid0(VALU_DEP_4)
	v_mov_b32_e32 v0, v9
	s_wait_alu 0xfffd
	v_add_co_ci_u32_e32 v31, vcc_lo, s11, v34, vcc_lo
	v_mov_b32_e32 v1, v11
	v_mad_co_u64_u32 v[20:21], null, s8, v48, 0
	v_mad_co_u64_u32 v[24:25], null, s8, v47, 0
	s_delay_alu instid0(VALU_DEP_3) | instskip(NEXT) | instid1(VALU_DEP_1)
	v_mad_co_u64_u32 v[2:3], null, s9, v53, v[0:1]
	v_mad_co_u64_u32 v[14:15], null, s9, v52, v[1:2]
	s_delay_alu instid0(VALU_DEP_1)
	v_mov_b32_e32 v11, v14
	v_mad_co_u64_u32 v[14:15], null, s8, v50, 0
	v_mov_b32_e32 v9, v2
	ds_load_b128 v[0:3], v54
	ds_load_b128 v[4:7], v54 offset:1024
	v_lshlrev_b64_e32 v[10:11], 4, v[10:11]
	v_lshlrev_b64_e32 v[8:9], 4, v[8:9]
	v_mad_co_u64_u32 v[16:17], null, s9, v51, v[13:14]
	s_delay_alu instid0(VALU_DEP_2) | instskip(SKIP_1) | instid1(VALU_DEP_3)
	v_add_co_u32 v8, vcc_lo, v30, v8
	s_wait_alu 0xfffd
	v_add_co_ci_u32_e32 v9, vcc_lo, v31, v9, vcc_lo
	v_add_co_u32 v10, vcc_lo, v30, v10
	s_delay_alu instid0(VALU_DEP_4)
	v_mov_b32_e32 v13, v16
	s_wait_alu 0xfffd
	v_add_co_ci_u32_e32 v11, vcc_lo, v31, v11, vcc_lo
	s_wait_dscnt 0x1
	global_store_b128 v[8:9], v[0:3], off
	s_wait_dscnt 0x0
	global_store_b128 v[10:11], v[4:7], off
	v_lshlrev_b64_e32 v[1:2], 4, v[12:13]
	v_mov_b32_e32 v0, v15
	v_mad_co_u64_u32 v[8:9], null, s8, v49, 0
	v_mov_b32_e32 v13, v25
	s_delay_alu instid0(VALU_DEP_3) | instskip(SKIP_1) | instid1(VALU_DEP_4)
	v_mad_co_u64_u32 v[3:4], null, s9, v50, v[0:1]
	v_add_co_u32 v22, vcc_lo, v30, v1
	v_mov_b32_e32 v0, v9
	s_wait_alu 0xfffd
	v_add_co_ci_u32_e32 v23, vcc_lo, v31, v2, vcc_lo
	s_delay_alu instid0(VALU_DEP_4) | instskip(NEXT) | instid1(VALU_DEP_3)
	v_mov_b32_e32 v15, v3
	v_mad_co_u64_u32 v[9:10], null, s9, v49, v[0:1]
	v_mov_b32_e32 v10, v21
	ds_load_b128 v[0:3], v54 offset:2048
	ds_load_b128 v[4:7], v54 offset:3072
	v_lshlrev_b64_e32 v[11:12], 4, v[14:15]
	v_lshlrev_b64_e32 v[28:29], 4, v[8:9]
	s_delay_alu instid0(VALU_DEP_2) | instskip(NEXT) | instid1(VALU_DEP_1)
	v_mad_co_u64_u32 v[14:15], null, s9, v48, v[10:11]
	v_mad_co_u64_u32 v[25:26], null, s9, v47, v[13:14]
	v_add_co_u32 v26, vcc_lo, v30, v11
	s_wait_alu 0xfffd
	v_add_co_ci_u32_e32 v27, vcc_lo, v31, v12, vcc_lo
	v_mov_b32_e32 v21, v14
	ds_load_b128 v[8:11], v54 offset:4096
	ds_load_b128 v[12:15], v54 offset:5120
	;; [unrolled: 1-line block ×3, first 2 shown]
	v_add_co_u32 v28, vcc_lo, v30, v28
	v_lshlrev_b64_e32 v[24:25], 4, v[24:25]
	v_lshlrev_b64_e32 v[20:21], 4, v[20:21]
	s_wait_alu 0xfffd
	v_add_co_ci_u32_e32 v29, vcc_lo, v31, v29, vcc_lo
	s_delay_alu instid0(VALU_DEP_2) | instskip(SKIP_1) | instid1(VALU_DEP_3)
	v_add_co_u32 v20, vcc_lo, v30, v20
	s_wait_alu 0xfffd
	v_add_co_ci_u32_e32 v21, vcc_lo, v31, v21, vcc_lo
	v_add_co_u32 v24, vcc_lo, v30, v24
	s_wait_alu 0xfffd
	v_add_co_ci_u32_e32 v25, vcc_lo, v31, v25, vcc_lo
	s_wait_dscnt 0x4
	global_store_b128 v[22:23], v[0:3], off
	s_wait_dscnt 0x3
	global_store_b128 v[26:27], v[4:7], off
	;; [unrolled: 2-line block ×5, first 2 shown]
.LBB0_19:
	s_nop 0
	s_sendmsg sendmsg(MSG_DEALLOC_VGPRS)
	s_endpgm
	.section	.rodata,"a",@progbits
	.p2align	6, 0x0
	.amdhsa_kernel fft_rtc_fwd_len448_factors_8_7_8_wgs_128_tpt_64_dp_ip_CI_sbrr_dirReg
		.amdhsa_group_segment_fixed_size 0
		.amdhsa_private_segment_fixed_size 0
		.amdhsa_kernarg_size 88
		.amdhsa_user_sgpr_count 2
		.amdhsa_user_sgpr_dispatch_ptr 0
		.amdhsa_user_sgpr_queue_ptr 0
		.amdhsa_user_sgpr_kernarg_segment_ptr 1
		.amdhsa_user_sgpr_dispatch_id 0
		.amdhsa_user_sgpr_private_segment_size 0
		.amdhsa_wavefront_size32 1
		.amdhsa_uses_dynamic_stack 0
		.amdhsa_enable_private_segment 0
		.amdhsa_system_sgpr_workgroup_id_x 1
		.amdhsa_system_sgpr_workgroup_id_y 0
		.amdhsa_system_sgpr_workgroup_id_z 0
		.amdhsa_system_sgpr_workgroup_info 0
		.amdhsa_system_vgpr_workitem_id 0
		.amdhsa_next_free_vgpr 86
		.amdhsa_next_free_sgpr 35
		.amdhsa_reserve_vcc 1
		.amdhsa_float_round_mode_32 0
		.amdhsa_float_round_mode_16_64 0
		.amdhsa_float_denorm_mode_32 3
		.amdhsa_float_denorm_mode_16_64 3
		.amdhsa_fp16_overflow 0
		.amdhsa_workgroup_processor_mode 1
		.amdhsa_memory_ordered 1
		.amdhsa_forward_progress 0
		.amdhsa_round_robin_scheduling 0
		.amdhsa_exception_fp_ieee_invalid_op 0
		.amdhsa_exception_fp_denorm_src 0
		.amdhsa_exception_fp_ieee_div_zero 0
		.amdhsa_exception_fp_ieee_overflow 0
		.amdhsa_exception_fp_ieee_underflow 0
		.amdhsa_exception_fp_ieee_inexact 0
		.amdhsa_exception_int_div_zero 0
	.end_amdhsa_kernel
	.text
.Lfunc_end0:
	.size	fft_rtc_fwd_len448_factors_8_7_8_wgs_128_tpt_64_dp_ip_CI_sbrr_dirReg, .Lfunc_end0-fft_rtc_fwd_len448_factors_8_7_8_wgs_128_tpt_64_dp_ip_CI_sbrr_dirReg
                                        ; -- End function
	.section	.AMDGPU.csdata,"",@progbits
; Kernel info:
; codeLenInByte = 5336
; NumSgprs: 37
; NumVgprs: 86
; ScratchSize: 0
; MemoryBound: 0
; FloatMode: 240
; IeeeMode: 1
; LDSByteSize: 0 bytes/workgroup (compile time only)
; SGPRBlocks: 4
; VGPRBlocks: 10
; NumSGPRsForWavesPerEU: 37
; NumVGPRsForWavesPerEU: 86
; Occupancy: 16
; WaveLimiterHint : 1
; COMPUTE_PGM_RSRC2:SCRATCH_EN: 0
; COMPUTE_PGM_RSRC2:USER_SGPR: 2
; COMPUTE_PGM_RSRC2:TRAP_HANDLER: 0
; COMPUTE_PGM_RSRC2:TGID_X_EN: 1
; COMPUTE_PGM_RSRC2:TGID_Y_EN: 0
; COMPUTE_PGM_RSRC2:TGID_Z_EN: 0
; COMPUTE_PGM_RSRC2:TIDIG_COMP_CNT: 0
	.text
	.p2alignl 7, 3214868480
	.fill 96, 4, 3214868480
	.type	__hip_cuid_d36a58a8d477ab5d,@object ; @__hip_cuid_d36a58a8d477ab5d
	.section	.bss,"aw",@nobits
	.globl	__hip_cuid_d36a58a8d477ab5d
__hip_cuid_d36a58a8d477ab5d:
	.byte	0                               ; 0x0
	.size	__hip_cuid_d36a58a8d477ab5d, 1

	.ident	"AMD clang version 19.0.0git (https://github.com/RadeonOpenCompute/llvm-project roc-6.4.0 25133 c7fe45cf4b819c5991fe208aaa96edf142730f1d)"
	.section	".note.GNU-stack","",@progbits
	.addrsig
	.addrsig_sym __hip_cuid_d36a58a8d477ab5d
	.amdgpu_metadata
---
amdhsa.kernels:
  - .args:
      - .actual_access:  read_only
        .address_space:  global
        .offset:         0
        .size:           8
        .value_kind:     global_buffer
      - .offset:         8
        .size:           8
        .value_kind:     by_value
      - .actual_access:  read_only
        .address_space:  global
        .offset:         16
        .size:           8
        .value_kind:     global_buffer
      - .actual_access:  read_only
        .address_space:  global
        .offset:         24
        .size:           8
        .value_kind:     global_buffer
      - .offset:         32
        .size:           8
        .value_kind:     by_value
      - .actual_access:  read_only
        .address_space:  global
        .offset:         40
        .size:           8
        .value_kind:     global_buffer
      - .actual_access:  read_only
        .address_space:  global
        .offset:         48
        .size:           8
        .value_kind:     global_buffer
      - .offset:         56
        .size:           4
        .value_kind:     by_value
      - .actual_access:  read_only
        .address_space:  global
        .offset:         64
        .size:           8
        .value_kind:     global_buffer
      - .actual_access:  read_only
        .address_space:  global
        .offset:         72
        .size:           8
        .value_kind:     global_buffer
      - .address_space:  global
        .offset:         80
        .size:           8
        .value_kind:     global_buffer
    .group_segment_fixed_size: 0
    .kernarg_segment_align: 8
    .kernarg_segment_size: 88
    .language:       OpenCL C
    .language_version:
      - 2
      - 0
    .max_flat_workgroup_size: 128
    .name:           fft_rtc_fwd_len448_factors_8_7_8_wgs_128_tpt_64_dp_ip_CI_sbrr_dirReg
    .private_segment_fixed_size: 0
    .sgpr_count:     37
    .sgpr_spill_count: 0
    .symbol:         fft_rtc_fwd_len448_factors_8_7_8_wgs_128_tpt_64_dp_ip_CI_sbrr_dirReg.kd
    .uniform_work_group_size: 1
    .uses_dynamic_stack: false
    .vgpr_count:     86
    .vgpr_spill_count: 0
    .wavefront_size: 32
    .workgroup_processor_mode: 1
amdhsa.target:   amdgcn-amd-amdhsa--gfx1201
amdhsa.version:
  - 1
  - 2
...

	.end_amdgpu_metadata
